;; amdgpu-corpus repo=ROCm/rocFFT kind=compiled arch=gfx1030 opt=O3
	.text
	.amdgcn_target "amdgcn-amd-amdhsa--gfx1030"
	.amdhsa_code_object_version 6
	.protected	fft_rtc_fwd_len1485_factors_3_5_11_3_3_wgs_165_tpt_165_half_op_CI_CI_unitstride_sbrr_dirReg ; -- Begin function fft_rtc_fwd_len1485_factors_3_5_11_3_3_wgs_165_tpt_165_half_op_CI_CI_unitstride_sbrr_dirReg
	.globl	fft_rtc_fwd_len1485_factors_3_5_11_3_3_wgs_165_tpt_165_half_op_CI_CI_unitstride_sbrr_dirReg
	.p2align	8
	.type	fft_rtc_fwd_len1485_factors_3_5_11_3_3_wgs_165_tpt_165_half_op_CI_CI_unitstride_sbrr_dirReg,@function
fft_rtc_fwd_len1485_factors_3_5_11_3_3_wgs_165_tpt_165_half_op_CI_CI_unitstride_sbrr_dirReg: ; @fft_rtc_fwd_len1485_factors_3_5_11_3_3_wgs_165_tpt_165_half_op_CI_CI_unitstride_sbrr_dirReg
; %bb.0:
	s_clause 0x2
	s_load_dwordx4 s[12:15], s[4:5], 0x0
	s_load_dwordx4 s[8:11], s[4:5], 0x58
	;; [unrolled: 1-line block ×3, first 2 shown]
	v_mul_u32_u24_e32 v1, 0x18e, v0
	v_mov_b32_e32 v7, 0
	v_mov_b32_e32 v5, 0
	;; [unrolled: 1-line block ×3, first 2 shown]
	v_add_nc_u32_sdwa v9, s6, v1 dst_sel:DWORD dst_unused:UNUSED_PAD src0_sel:DWORD src1_sel:WORD_1
	v_mov_b32_e32 v10, v7
	s_waitcnt lgkmcnt(0)
	v_cmp_lt_u64_e64 s0, s[14:15], 2
	s_and_b32 vcc_lo, exec_lo, s0
	s_cbranch_vccnz .LBB0_8
; %bb.1:
	s_load_dwordx2 s[0:1], s[4:5], 0x10
	v_mov_b32_e32 v5, 0
	v_mov_b32_e32 v6, 0
	s_add_u32 s2, s18, 8
	s_addc_u32 s3, s19, 0
	v_mov_b32_e32 v1, v5
	s_add_u32 s6, s16, 8
	v_mov_b32_e32 v2, v6
	s_addc_u32 s7, s17, 0
	s_mov_b64 s[22:23], 1
	s_waitcnt lgkmcnt(0)
	s_add_u32 s20, s0, 8
	s_addc_u32 s21, s1, 0
.LBB0_2:                                ; =>This Inner Loop Header: Depth=1
	s_load_dwordx2 s[24:25], s[20:21], 0x0
                                        ; implicit-def: $vgpr3_vgpr4
	s_mov_b32 s0, exec_lo
	s_waitcnt lgkmcnt(0)
	v_or_b32_e32 v8, s25, v10
	v_cmpx_ne_u64_e32 0, v[7:8]
	s_xor_b32 s1, exec_lo, s0
	s_cbranch_execz .LBB0_4
; %bb.3:                                ;   in Loop: Header=BB0_2 Depth=1
	v_cvt_f32_u32_e32 v3, s24
	v_cvt_f32_u32_e32 v4, s25
	s_sub_u32 s0, 0, s24
	s_subb_u32 s26, 0, s25
	v_fmac_f32_e32 v3, 0x4f800000, v4
	v_rcp_f32_e32 v3, v3
	v_mul_f32_e32 v3, 0x5f7ffffc, v3
	v_mul_f32_e32 v4, 0x2f800000, v3
	v_trunc_f32_e32 v4, v4
	v_fmac_f32_e32 v3, 0xcf800000, v4
	v_cvt_u32_f32_e32 v4, v4
	v_cvt_u32_f32_e32 v3, v3
	v_mul_lo_u32 v8, s0, v4
	v_mul_hi_u32 v11, s0, v3
	v_mul_lo_u32 v12, s26, v3
	v_add_nc_u32_e32 v8, v11, v8
	v_mul_lo_u32 v11, s0, v3
	v_add_nc_u32_e32 v8, v8, v12
	v_mul_hi_u32 v12, v3, v11
	v_mul_lo_u32 v13, v3, v8
	v_mul_hi_u32 v14, v3, v8
	v_mul_hi_u32 v15, v4, v11
	v_mul_lo_u32 v11, v4, v11
	v_mul_hi_u32 v16, v4, v8
	v_mul_lo_u32 v8, v4, v8
	v_add_co_u32 v12, vcc_lo, v12, v13
	v_add_co_ci_u32_e32 v13, vcc_lo, 0, v14, vcc_lo
	v_add_co_u32 v11, vcc_lo, v12, v11
	v_add_co_ci_u32_e32 v11, vcc_lo, v13, v15, vcc_lo
	v_add_co_ci_u32_e32 v12, vcc_lo, 0, v16, vcc_lo
	v_add_co_u32 v8, vcc_lo, v11, v8
	v_add_co_ci_u32_e32 v11, vcc_lo, 0, v12, vcc_lo
	v_add_co_u32 v3, vcc_lo, v3, v8
	v_add_co_ci_u32_e32 v4, vcc_lo, v4, v11, vcc_lo
	v_mul_hi_u32 v8, s0, v3
	v_mul_lo_u32 v12, s26, v3
	v_mul_lo_u32 v11, s0, v4
	v_add_nc_u32_e32 v8, v8, v11
	v_mul_lo_u32 v11, s0, v3
	v_add_nc_u32_e32 v8, v8, v12
	v_mul_hi_u32 v12, v3, v11
	v_mul_lo_u32 v13, v3, v8
	v_mul_hi_u32 v14, v3, v8
	v_mul_hi_u32 v15, v4, v11
	v_mul_lo_u32 v11, v4, v11
	v_mul_hi_u32 v16, v4, v8
	v_mul_lo_u32 v8, v4, v8
	v_add_co_u32 v12, vcc_lo, v12, v13
	v_add_co_ci_u32_e32 v13, vcc_lo, 0, v14, vcc_lo
	v_add_co_u32 v11, vcc_lo, v12, v11
	v_add_co_ci_u32_e32 v11, vcc_lo, v13, v15, vcc_lo
	v_add_co_ci_u32_e32 v12, vcc_lo, 0, v16, vcc_lo
	v_add_co_u32 v8, vcc_lo, v11, v8
	v_add_co_ci_u32_e32 v11, vcc_lo, 0, v12, vcc_lo
	v_add_co_u32 v8, vcc_lo, v3, v8
	v_add_co_ci_u32_e32 v13, vcc_lo, v4, v11, vcc_lo
	v_mul_hi_u32 v15, v9, v8
	v_mad_u64_u32 v[11:12], null, v10, v8, 0
	v_mad_u64_u32 v[3:4], null, v9, v13, 0
	;; [unrolled: 1-line block ×3, first 2 shown]
	v_add_co_u32 v3, vcc_lo, v15, v3
	v_add_co_ci_u32_e32 v4, vcc_lo, 0, v4, vcc_lo
	v_add_co_u32 v3, vcc_lo, v3, v11
	v_add_co_ci_u32_e32 v3, vcc_lo, v4, v12, vcc_lo
	v_add_co_ci_u32_e32 v4, vcc_lo, 0, v14, vcc_lo
	v_add_co_u32 v8, vcc_lo, v3, v13
	v_add_co_ci_u32_e32 v11, vcc_lo, 0, v4, vcc_lo
	v_mul_lo_u32 v12, s25, v8
	v_mad_u64_u32 v[3:4], null, s24, v8, 0
	v_mul_lo_u32 v13, s24, v11
	v_sub_co_u32 v3, vcc_lo, v9, v3
	v_add3_u32 v4, v4, v13, v12
	v_sub_nc_u32_e32 v12, v10, v4
	v_subrev_co_ci_u32_e64 v12, s0, s25, v12, vcc_lo
	v_add_co_u32 v13, s0, v8, 2
	v_add_co_ci_u32_e64 v14, s0, 0, v11, s0
	v_sub_co_u32 v15, s0, v3, s24
	v_sub_co_ci_u32_e32 v4, vcc_lo, v10, v4, vcc_lo
	v_subrev_co_ci_u32_e64 v12, s0, 0, v12, s0
	v_cmp_le_u32_e32 vcc_lo, s24, v15
	v_cmp_eq_u32_e64 s0, s25, v4
	v_cndmask_b32_e64 v15, 0, -1, vcc_lo
	v_cmp_le_u32_e32 vcc_lo, s25, v12
	v_cndmask_b32_e64 v16, 0, -1, vcc_lo
	v_cmp_le_u32_e32 vcc_lo, s24, v3
	;; [unrolled: 2-line block ×3, first 2 shown]
	v_cndmask_b32_e64 v17, 0, -1, vcc_lo
	v_cmp_eq_u32_e32 vcc_lo, s25, v12
	v_cndmask_b32_e64 v3, v17, v3, s0
	v_cndmask_b32_e32 v12, v16, v15, vcc_lo
	v_add_co_u32 v15, vcc_lo, v8, 1
	v_add_co_ci_u32_e32 v16, vcc_lo, 0, v11, vcc_lo
	v_cmp_ne_u32_e32 vcc_lo, 0, v12
	v_cndmask_b32_e32 v4, v16, v14, vcc_lo
	v_cndmask_b32_e32 v12, v15, v13, vcc_lo
	v_cmp_ne_u32_e32 vcc_lo, 0, v3
	v_cndmask_b32_e32 v4, v11, v4, vcc_lo
	v_cndmask_b32_e32 v3, v8, v12, vcc_lo
.LBB0_4:                                ;   in Loop: Header=BB0_2 Depth=1
	s_andn2_saveexec_b32 s0, s1
	s_cbranch_execz .LBB0_6
; %bb.5:                                ;   in Loop: Header=BB0_2 Depth=1
	v_cvt_f32_u32_e32 v3, s24
	s_sub_i32 s1, 0, s24
	v_rcp_iflag_f32_e32 v3, v3
	v_mul_f32_e32 v3, 0x4f7ffffe, v3
	v_cvt_u32_f32_e32 v3, v3
	v_mul_lo_u32 v4, s1, v3
	v_mul_hi_u32 v4, v3, v4
	v_add_nc_u32_e32 v3, v3, v4
	v_mul_hi_u32 v3, v9, v3
	v_mul_lo_u32 v4, v3, s24
	v_add_nc_u32_e32 v8, 1, v3
	v_sub_nc_u32_e32 v4, v9, v4
	v_subrev_nc_u32_e32 v11, s24, v4
	v_cmp_le_u32_e32 vcc_lo, s24, v4
	v_cndmask_b32_e32 v4, v4, v11, vcc_lo
	v_cndmask_b32_e32 v3, v3, v8, vcc_lo
	v_cmp_le_u32_e32 vcc_lo, s24, v4
	v_add_nc_u32_e32 v8, 1, v3
	v_mov_b32_e32 v4, v7
	v_cndmask_b32_e32 v3, v3, v8, vcc_lo
.LBB0_6:                                ;   in Loop: Header=BB0_2 Depth=1
	s_or_b32 exec_lo, exec_lo, s0
	v_mul_lo_u32 v8, v4, s24
	v_mul_lo_u32 v13, v3, s25
	s_load_dwordx2 s[0:1], s[6:7], 0x0
	v_mad_u64_u32 v[11:12], null, v3, s24, 0
	s_load_dwordx2 s[24:25], s[2:3], 0x0
	s_add_u32 s22, s22, 1
	s_addc_u32 s23, s23, 0
	s_add_u32 s2, s2, 8
	s_addc_u32 s3, s3, 0
	s_add_u32 s6, s6, 8
	v_add3_u32 v8, v12, v13, v8
	v_sub_co_u32 v9, vcc_lo, v9, v11
	s_addc_u32 s7, s7, 0
	s_add_u32 s20, s20, 8
	v_sub_co_ci_u32_e32 v8, vcc_lo, v10, v8, vcc_lo
	s_addc_u32 s21, s21, 0
	s_waitcnt lgkmcnt(0)
	v_mul_lo_u32 v10, s0, v8
	v_mul_lo_u32 v11, s1, v9
	v_mad_u64_u32 v[5:6], null, s0, v9, v[5:6]
	v_mul_lo_u32 v8, s24, v8
	v_mul_lo_u32 v12, s25, v9
	v_mad_u64_u32 v[1:2], null, s24, v9, v[1:2]
	v_cmp_ge_u64_e64 s0, s[22:23], s[14:15]
	v_add3_u32 v6, v11, v6, v10
	v_add3_u32 v2, v12, v2, v8
	s_and_b32 vcc_lo, exec_lo, s0
	s_cbranch_vccnz .LBB0_9
; %bb.7:                                ;   in Loop: Header=BB0_2 Depth=1
	v_mov_b32_e32 v10, v4
	v_mov_b32_e32 v9, v3
	s_branch .LBB0_2
.LBB0_8:
	v_mov_b32_e32 v1, v5
	v_mov_b32_e32 v3, v9
	;; [unrolled: 1-line block ×4, first 2 shown]
.LBB0_9:
	s_load_dwordx2 s[0:1], s[4:5], 0x28
	v_mul_hi_u32 v14, 0x18d3019, v0
	s_lshl_b64 s[4:5], s[14:15], 3
                                        ; implicit-def: $vgpr15
	s_add_u32 s2, s18, s4
	s_addc_u32 s3, s19, s5
	s_waitcnt lgkmcnt(0)
	v_cmp_gt_u64_e32 vcc_lo, s[0:1], v[3:4]
	v_cmp_le_u64_e64 s0, s[0:1], v[3:4]
	s_and_saveexec_b32 s1, s0
	s_xor_b32 s0, exec_lo, s1
; %bb.10:
	v_mul_u32_u24_e32 v5, 0xa5, v14
                                        ; implicit-def: $vgpr14
	v_sub_nc_u32_e32 v15, v0, v5
                                        ; implicit-def: $vgpr0
                                        ; implicit-def: $vgpr5_vgpr6
; %bb.11:
	s_or_saveexec_b32 s1, s0
                                        ; implicit-def: $vgpr16
                                        ; implicit-def: $vgpr17
                                        ; implicit-def: $vgpr10
                                        ; implicit-def: $vgpr7
                                        ; implicit-def: $vgpr13
                                        ; implicit-def: $vgpr8
                                        ; implicit-def: $vgpr9
                                        ; implicit-def: $vgpr12
                                        ; implicit-def: $vgpr11
	s_xor_b32 exec_lo, exec_lo, s1
	s_cbranch_execz .LBB0_13
; %bb.12:
	s_add_u32 s4, s16, s4
	s_addc_u32 s5, s17, s5
	v_lshlrev_b64 v[5:6], 2, v[5:6]
	s_load_dwordx2 s[4:5], s[4:5], 0x0
	s_waitcnt lgkmcnt(0)
	v_mul_lo_u32 v9, s5, v3
	v_mul_lo_u32 v10, s4, v4
	v_mad_u64_u32 v[7:8], null, s4, v3, 0
	v_add3_u32 v8, v8, v10, v9
	v_mul_u32_u24_e32 v9, 0xa5, v14
	v_lshlrev_b64 v[7:8], 2, v[7:8]
	v_sub_nc_u32_e32 v15, v0, v9
	v_add_co_u32 v0, s0, s8, v7
	v_add_co_ci_u32_e64 v7, s0, s9, v8, s0
	v_lshlrev_b32_e32 v8, 2, v15
	v_add_co_u32 v0, s0, v0, v5
	v_add_co_ci_u32_e64 v6, s0, v7, v6, s0
	v_add_co_u32 v5, s0, v0, v8
	v_add_co_ci_u32_e64 v6, s0, 0, v6, s0
	;; [unrolled: 2-line block ×4, first 2 shown]
	s_clause 0x8
	global_load_dword v16, v[5:6], off
	global_load_dword v7, v[5:6], off offset:660
	global_load_dword v13, v[11:12], off offset:592
	;; [unrolled: 1-line block ×8, first 2 shown]
.LBB0_13:
	s_or_b32 exec_lo, exec_lo, s1
	s_waitcnt vmcnt(2)
	v_pk_add_f16 v0, v17, v10
	v_pk_add_f16 v5, v17, v10 neg_lo:[0,1] neg_hi:[0,1]
	v_pk_add_f16 v6, v16, v17
	v_pk_add_f16 v14, v7, v13
	v_mad_u32_u24 v17, v15, 12, 0
	v_pk_fma_f16 v0, v0, 0.5, v16 op_sel_hi:[1,0,1] neg_lo:[1,0,0] neg_hi:[1,0,0]
	v_pk_mul_f16 v5, 0x3aee, v5 op_sel_hi:[0,1]
	s_waitcnt vmcnt(1)
	v_pk_add_f16 v16, v12, v11
	s_waitcnt vmcnt(0)
	v_pk_add_f16 v19, v9, v12
	v_pk_add_f16 v6, v6, v10
	v_pk_add_f16 v12, v12, v9 neg_lo:[0,1] neg_hi:[0,1]
	v_pk_add_f16 v18, v0, v5 op_sel:[0,1] op_sel_hi:[1,0]
	v_pk_add_f16 v0, v0, v5 op_sel:[0,1] op_sel_hi:[1,0] neg_lo:[0,1] neg_hi:[0,1]
	v_pk_add_f16 v5, v13, v8
	v_pk_add_f16 v13, v13, v8 neg_lo:[0,1] neg_hi:[0,1]
	s_load_dwordx2 s[2:3], s[2:3], 0x0
	v_cmp_gt_u32_e64 s0, 0x84, v15
	v_bfi_b32 v10, 0xffff, v18, v0
	v_bfi_b32 v0, 0xffff, v0, v18
	v_pk_fma_f16 v5, v5, 0.5, v7 op_sel_hi:[1,0,1] neg_lo:[1,0,0] neg_hi:[1,0,0]
	v_pk_mul_f16 v13, 0x3aee, v13 op_sel_hi:[0,1]
	ds_write2_b32 v17, v6, v10 offset1:1
	ds_write_b32 v17, v0 offset:8
	v_pk_fma_f16 v0, v19, 0.5, v11 op_sel_hi:[1,0,1] neg_lo:[1,0,0] neg_hi:[1,0,0]
	v_pk_mul_f16 v6, 0x3aee, v12 op_sel_hi:[0,1]
	v_pk_add_f16 v7, v5, v13 op_sel:[0,1] op_sel_hi:[1,0] neg_lo:[0,1] neg_hi:[0,1]
	v_pk_add_f16 v18, v5, v13 op_sel:[0,1] op_sel_hi:[1,0]
	v_add_nc_u32_e32 v10, 0x7bc, v17
	v_pk_add_f16 v11, v14, v8
	v_pk_add_f16 v5, v0, v6 op_sel:[0,1] op_sel_hi:[1,0] neg_lo:[0,1] neg_hi:[0,1]
	v_pk_add_f16 v6, v0, v6 op_sel:[0,1] op_sel_hi:[1,0]
	v_bfi_b32 v0, 0xffff, v18, v7
	v_lshlrev_b32_e32 v14, 3, v15
	v_bfi_b32 v12, 0xffff, v7, v18
	v_add_nc_u32_e32 v13, 0xf78, v17
	v_pk_add_f16 v8, v9, v16
	v_bfi_b32 v9, 0xffff, v6, v5
	v_bfi_b32 v16, 0xffff, v5, v6
	ds_write2_b32 v10, v11, v0 offset1:1
	ds_write_b32 v17, v12 offset:1988
	ds_write2_b32 v13, v8, v9 offset1:1
	v_sub_nc_u32_e32 v0, v17, v14
	v_lshrrev_b32_e32 v18, 16, v18
	ds_write_b32 v17, v16 offset:3968
	s_waitcnt lgkmcnt(0)
	s_barrier
	buffer_gl0_inv
	ds_read_b32 v10, v0
	ds_read_b32 v13, v0 offset:1188
	ds_read_b32 v12, v0 offset:2376
	;; [unrolled: 1-line block ×4, first 2 shown]
	v_sub_nc_u32_e32 v0, 0, v14
	v_lshrrev_b32_e32 v23, 16, v6
	v_lshrrev_b32_e32 v22, 16, v8
	;; [unrolled: 1-line block ×3, first 2 shown]
                                        ; implicit-def: $vgpr14
	v_add_nc_u32_e32 v0, v17, v0
                                        ; implicit-def: $vgpr17
	s_and_saveexec_b32 s1, s0
	s_cbranch_execz .LBB0_15
; %bb.14:
	ds_read_b32 v7, v0 offset:660
	ds_read_b32 v14, v0 offset:5412
	;; [unrolled: 1-line block ×5, first 2 shown]
	s_waitcnt lgkmcnt(4)
	v_lshrrev_b32_e32 v18, 16, v7
	s_waitcnt lgkmcnt(3)
	v_lshrrev_b32_e32 v17, 16, v14
	;; [unrolled: 2-line block ×5, first 2 shown]
.LBB0_15:
	s_or_b32 exec_lo, exec_lo, s1
	v_and_b32_e32 v20, 0xff, v15
	v_add_nc_u32_e32 v16, 0xa5, v15
	v_mov_b32_e32 v21, 0xaaab
	v_mov_b32_e32 v37, 60
	s_waitcnt lgkmcnt(3)
	v_lshrrev_b32_e32 v38, 16, v13
	v_mul_lo_u16 v19, 0xab, v20
	s_waitcnt lgkmcnt(2)
	v_lshrrev_b32_e32 v39, 16, v12
	s_waitcnt lgkmcnt(0)
	v_lshrrev_b32_e32 v40, 16, v9
	v_lshrrev_b16 v26, 9, v19
	v_mul_u32_u24_sdwa v19, v16, v21 dst_sel:DWORD dst_unused:UNUSED_PAD src0_sel:WORD_0 src1_sel:DWORD
	v_mul_lo_u16 v24, v26, 3
	v_lshrrev_b32_e32 v21, 17, v19
	v_mov_b32_e32 v19, 4
	v_mul_u32_u24_sdwa v26, v26, v37 dst_sel:DWORD dst_unused:UNUSED_PAD src0_sel:WORD_0 src1_sel:DWORD
	v_lshrrev_b32_e32 v37, 16, v11
	v_sub_nc_u16 v36, v15, v24
	v_mul_lo_u16 v24, v21, 3
	v_lshlrev_b32_sdwa v27, v19, v36 dst_sel:DWORD dst_unused:UNUSED_PAD src0_sel:DWORD src1_sel:BYTE_0
	v_sub_nc_u16 v24, v16, v24
	global_load_dwordx4 v[28:31], v27, s[12:13]
	v_lshlrev_b32_sdwa v19, v19, v24 dst_sel:DWORD dst_unused:UNUSED_PAD src0_sel:DWORD src1_sel:WORD_0
	global_load_dwordx4 v[32:35], v19, s[12:13]
	v_mov_b32_e32 v27, 2
	v_lshrrev_b32_e32 v19, 16, v10
	s_waitcnt vmcnt(0)
	s_barrier
	buffer_gl0_inv
	v_lshlrev_b32_sdwa v36, v27, v36 dst_sel:DWORD dst_unused:UNUSED_PAD src0_sel:DWORD src1_sel:BYTE_0
	v_add3_u32 v36, 0, v26, v36
	v_mul_f16_sdwa v26, v28, v38 dst_sel:DWORD dst_unused:UNUSED_PAD src0_sel:WORD_1 src1_sel:DWORD
	v_mul_f16_sdwa v42, v29, v39 dst_sel:DWORD dst_unused:UNUSED_PAD src0_sel:WORD_1 src1_sel:DWORD
	v_mul_f16_sdwa v43, v29, v12 dst_sel:DWORD dst_unused:UNUSED_PAD src0_sel:WORD_1 src1_sel:DWORD
	v_mul_f16_sdwa v44, v30, v37 dst_sel:DWORD dst_unused:UNUSED_PAD src0_sel:WORD_1 src1_sel:DWORD
	v_mul_f16_sdwa v45, v30, v11 dst_sel:DWORD dst_unused:UNUSED_PAD src0_sel:WORD_1 src1_sel:DWORD
	v_mul_f16_sdwa v46, v31, v40 dst_sel:DWORD dst_unused:UNUSED_PAD src0_sel:WORD_1 src1_sel:DWORD
	v_mul_f16_sdwa v41, v28, v13 dst_sel:DWORD dst_unused:UNUSED_PAD src0_sel:WORD_1 src1_sel:DWORD
	v_mul_f16_sdwa v47, v31, v9 dst_sel:DWORD dst_unused:UNUSED_PAD src0_sel:WORD_1 src1_sel:DWORD
	v_mul_f16_sdwa v48, v22, v32 dst_sel:DWORD dst_unused:UNUSED_PAD src0_sel:DWORD src1_sel:WORD_1
	v_mul_f16_sdwa v49, v8, v32 dst_sel:DWORD dst_unused:UNUSED_PAD src0_sel:DWORD src1_sel:WORD_1
	;; [unrolled: 1-line block ×8, first 2 shown]
	v_fma_f16 v13, v28, v13, -v26
	v_fma_f16 v12, v29, v12, -v42
	v_fmac_f16_e32 v43, v29, v39
	v_fma_f16 v26, v30, v11, -v44
	v_fmac_f16_e32 v45, v30, v37
	;; [unrolled: 2-line block ×3, first 2 shown]
	v_fmac_f16_e32 v47, v31, v40
	v_fma_f16 v8, v8, v32, -v48
	v_fmac_f16_e32 v49, v22, v32
	v_fma_f16 v6, v6, v33, -v50
	;; [unrolled: 2-line block ×4, first 2 shown]
	v_fmac_f16_e32 v55, v17, v35
	v_add_f16_e32 v11, v12, v26
	v_sub_f16_e32 v14, v13, v12
	v_sub_f16_e32 v22, v30, v26
	v_add_f16_e32 v33, v43, v45
	v_add_f16_e32 v9, v10, v13
	;; [unrolled: 1-line block ×4, first 2 shown]
	v_sub_f16_e32 v17, v41, v47
	v_sub_f16_e32 v25, v12, v13
	;; [unrolled: 1-line block ×3, first 2 shown]
	v_add_f16_e32 v29, v19, v41
	v_sub_f16_e32 v34, v13, v30
	v_sub_f16_e32 v13, v41, v43
	;; [unrolled: 1-line block ×4, first 2 shown]
	v_add_f16_e32 v41, v7, v8
	v_add_f16_e32 v42, v6, v5
	;; [unrolled: 1-line block ×7, first 2 shown]
	v_fma_f16 v11, -0.5, v11, v10
	v_fma_f16 v22, -0.5, v33, v19
	v_sub_f16_e32 v32, v43, v45
	v_sub_f16_e32 v35, v12, v26
	v_add_f16_e32 v9, v9, v12
	v_fmac_f16_e32 v10, -0.5, v23
	v_fmac_f16_e32 v19, -0.5, v38
	v_sub_f16_e32 v44, v49, v55
	v_sub_f16_e32 v46, v51, v53
	;; [unrolled: 1-line block ×6, first 2 shown]
	v_add_f16_e32 v66, v25, v28
	v_add_f16_e32 v12, v29, v43
	v_add_f16_e32 v33, v13, v37
	v_add_f16_e32 v13, v41, v6
	v_fma_f16 v8, -0.5, v42, v7
	v_fmac_f16_e32 v7, -0.5, v52
	v_add_f16_e32 v28, v57, v51
	v_fma_f16 v23, -0.5, v58, v18
	v_fmac_f16_e32 v18, -0.5, v63
	v_fmamk_f16 v6, v17, 0x3b9c, v11
	v_fmamk_f16 v25, v34, 0xbb9c, v22
	v_sub_f16_e32 v40, v45, v47
	v_add_f16_e32 v42, v9, v26
	v_fmamk_f16 v9, v32, 0xbb9c, v10
	v_fmac_f16_e32 v10, 0x3b9c, v32
	v_fmamk_f16 v26, v35, 0x3b9c, v19
	v_fmac_f16_e32 v19, 0xbb9c, v35
	v_fmac_f16_e32 v11, 0xbb9c, v17
	;; [unrolled: 1-line block ×3, first 2 shown]
	v_sub_f16_e32 v50, v31, v5
	v_sub_f16_e32 v56, v5, v31
	;; [unrolled: 1-line block ×6, first 2 shown]
	v_add_f16_e32 v12, v12, v45
	v_add_f16_e32 v43, v13, v5
	v_fmamk_f16 v13, v44, 0x3b9c, v8
	v_fmac_f16_e32 v8, 0xbb9c, v44
	v_fmamk_f16 v14, v46, 0xbb9c, v7
	v_fmac_f16_e32 v7, 0x3b9c, v46
	v_add_f16_e32 v45, v28, v53
	v_fmamk_f16 v28, v59, 0xbb9c, v23
	v_fmac_f16_e32 v23, 0x3b9c, v59
	v_fmamk_f16 v29, v60, 0x3b9c, v18
	v_fmac_f16_e32 v18, 0xbb9c, v60
	v_fmac_f16_e32 v6, 0x38b4, v32
	;; [unrolled: 1-line block ×3, first 2 shown]
	v_add_f16_e32 v37, v39, v40
	v_fmac_f16_e32 v9, 0x38b4, v17
	v_fmac_f16_e32 v10, 0xb8b4, v17
	;; [unrolled: 1-line block ×6, first 2 shown]
	v_add_f16_e32 v38, v48, v50
	v_add_f16_e32 v39, v54, v56
	v_add_f16_e32 v40, v61, v62
	v_add_f16_e32 v41, v49, v64
	v_add_f16_e32 v5, v42, v30
	v_add_f16_e32 v17, v12, v47
	v_fmac_f16_e32 v13, 0x38b4, v46
	v_fmac_f16_e32 v8, 0xb8b4, v46
	;; [unrolled: 1-line block ×16, first 2 shown]
	v_add_f16_e32 v12, v43, v31
	v_add_f16_e32 v30, v45, v55
	v_fmac_f16_e32 v13, 0x34f2, v38
	v_fmac_f16_e32 v8, 0x34f2, v38
	;; [unrolled: 1-line block ×7, first 2 shown]
	v_pack_b32_f16 v31, v5, v17
	v_pack_b32_f16 v32, v6, v25
	v_fmac_f16_e32 v18, 0x34f2, v41
	v_pack_b32_f16 v33, v9, v26
	v_pack_b32_f16 v34, v10, v19
	;; [unrolled: 1-line block ×3, first 2 shown]
	ds_write2_b32 v36, v31, v32 offset1:3
	ds_write2_b32 v36, v33, v34 offset0:6 offset1:9
	ds_write_b32 v36, v35 offset:48
	s_and_saveexec_b32 s1, s0
	s_cbranch_execz .LBB0_17
; %bb.16:
	v_mul_lo_u16 v21, v21, 15
	v_lshlrev_b32_sdwa v24, v27, v24 dst_sel:DWORD dst_unused:UNUSED_PAD src0_sel:DWORD src1_sel:WORD_0
	v_perm_b32 v31, v28, v13, 0x5040100
	v_perm_b32 v32, v29, v14, 0x5040100
	;; [unrolled: 1-line block ×3, first 2 shown]
	v_lshlrev_b32_sdwa v21, v27, v21 dst_sel:DWORD dst_unused:UNUSED_PAD src0_sel:DWORD src1_sel:WORD_0
	v_perm_b32 v27, v30, v12, 0x5040100
	v_add3_u32 v21, 0, v24, v21
	v_perm_b32 v24, v18, v7, 0x5040100
	ds_write2_b32 v21, v27, v31 offset1:3
	ds_write2_b32 v21, v32, v24 offset0:6 offset1:9
	ds_write_b32 v21, v33 offset:48
.LBB0_17:
	s_or_b32 exec_lo, exec_lo, s1
	v_cmp_gt_u32_e64 s0, 0x87, v15
	s_waitcnt lgkmcnt(0)
	s_barrier
	buffer_gl0_inv
                                        ; implicit-def: $vgpr35
                                        ; implicit-def: $vgpr34
	s_and_saveexec_b32 s1, s0
	s_cbranch_execz .LBB0_19
; %bb.18:
	v_add_nc_u32_e32 v7, 0x1000, v0
	v_add_nc_u32_e32 v9, 0x400, v0
	;; [unrolled: 1-line block ×4, first 2 shown]
	ds_read2_b32 v[5:6], v0 offset1:135
	ds_read_b32 v34, v0 offset:5400
	ds_read2_b32 v[7:8], v7 offset0:56 offset1:191
	ds_read2_b32 v[9:10], v9 offset0:14 offset1:149
	;; [unrolled: 1-line block ×4, first 2 shown]
	s_waitcnt lgkmcnt(5)
	v_lshrrev_b32_e32 v17, 16, v5
	s_waitcnt lgkmcnt(4)
	v_lshrrev_b32_e32 v35, 16, v34
	v_lshrrev_b32_e32 v25, 16, v6
	s_waitcnt lgkmcnt(3)
	v_lshrrev_b32_e32 v18, 16, v7
	;; [unrolled: 3-line block ×5, first 2 shown]
	v_lshrrev_b32_e32 v29, 16, v14
.LBB0_19:
	s_or_b32 exec_lo, exec_lo, s1
	s_barrier
	buffer_gl0_inv
	s_and_saveexec_b32 s1, s0
	s_cbranch_execz .LBB0_21
; %bb.20:
	v_mul_lo_u16 v20, 0x89, v20
	v_mov_b32_e32 v24, 10
	v_mov_b32_e32 v27, 2
	v_lshrrev_b16 v20, 11, v20
	v_mul_lo_u16 v21, v20, 15
	v_sub_nc_u16 v21, v15, v21
	v_mul_u32_u24_sdwa v24, v21, v24 dst_sel:DWORD dst_unused:UNUSED_PAD src0_sel:BYTE_0 src1_sel:DWORD
	v_lshlrev_b32_sdwa v21, v27, v21 dst_sel:DWORD dst_unused:UNUSED_PAD src0_sel:DWORD src1_sel:BYTE_0
	v_lshlrev_b32_e32 v24, 2, v24
	s_clause 0x2
	global_load_dwordx4 v[36:39], v24, s[12:13] offset:48
	global_load_dwordx2 v[44:45], v24, s[12:13] offset:80
	global_load_dwordx4 v[40:43], v24, s[12:13] offset:64
	v_mov_b32_e32 v24, 0x294
	v_mul_u32_u24_sdwa v20, v20, v24 dst_sel:DWORD dst_unused:UNUSED_PAD src0_sel:WORD_0 src1_sel:DWORD
	v_add3_u32 v20, 0, v20, v21
	s_waitcnt vmcnt(2)
	v_mul_f16_sdwa v46, v25, v36 dst_sel:DWORD dst_unused:UNUSED_PAD src0_sel:DWORD src1_sel:WORD_1
	v_mul_f16_sdwa v48, v6, v36 dst_sel:DWORD dst_unused:UNUSED_PAD src0_sel:DWORD src1_sel:WORD_1
	;; [unrolled: 1-line block ×3, first 2 shown]
	s_waitcnt vmcnt(1)
	v_mul_f16_sdwa v50, v23, v44 dst_sel:DWORD dst_unused:UNUSED_PAD src0_sel:DWORD src1_sel:WORD_1
	v_mul_f16_sdwa v24, v8, v44 dst_sel:DWORD dst_unused:UNUSED_PAD src0_sel:DWORD src1_sel:WORD_1
	;; [unrolled: 1-line block ×5, first 2 shown]
	s_waitcnt vmcnt(0)
	v_mul_f16_sdwa v33, v12, v40 dst_sel:DWORD dst_unused:UNUSED_PAD src0_sel:DWORD src1_sel:WORD_1
	v_fma_f16 v46, v6, v36, -v46
	v_fmac_f16_e32 v48, v25, v36
	v_mul_f16_sdwa v47, v35, v45 dst_sel:DWORD dst_unused:UNUSED_PAD src0_sel:DWORD src1_sel:WORD_1
	v_mul_f16_sdwa v21, v34, v45 dst_sel:DWORD dst_unused:UNUSED_PAD src0_sel:DWORD src1_sel:WORD_1
	;; [unrolled: 1-line block ×5, first 2 shown]
	v_fma_f16 v25, v9, v37, -v49
	v_fma_f16 v8, v8, v44, -v50
	v_fmac_f16_e32 v24, v23, v44
	v_fmac_f16_e32 v51, v26, v37
	v_fma_f16 v23, v10, v38, -v52
	v_fmac_f16_e32 v54, v19, v38
	v_fmac_f16_e32 v33, v30, v40
	v_add_f16_e32 v30, v5, v46
	v_add_f16_e32 v38, v17, v48
	v_mul_f16_sdwa v55, v22, v39 dst_sel:DWORD dst_unused:UNUSED_PAD src0_sel:DWORD src1_sel:WORD_1
	v_mul_f16_sdwa v56, v29, v42 dst_sel:DWORD dst_unused:UNUSED_PAD src0_sel:DWORD src1_sel:WORD_1
	;; [unrolled: 1-line block ×6, first 2 shown]
	v_fma_f16 v6, v34, v45, -v47
	v_fmac_f16_e32 v21, v35, v45
	v_fma_f16 v7, v7, v43, -v53
	v_fmac_f16_e32 v27, v18, v43
	v_fma_f16 v12, v12, v40, -v58
	v_sub_f16_e32 v18, v25, v8
	v_add_f16_e32 v40, v25, v8
	v_add_f16_e32 v38, v38, v51
	;; [unrolled: 1-line block ×3, first 2 shown]
	v_fma_f16 v11, v11, v39, -v55
	v_fma_f16 v9, v14, v42, -v56
	v_fmac_f16_e32 v31, v29, v42
	v_fmac_f16_e32 v57, v22, v39
	v_fma_f16 v10, v13, v41, -v59
	v_fmac_f16_e32 v32, v28, v41
	v_sub_f16_e32 v13, v46, v6
	v_sub_f16_e32 v29, v48, v21
	;; [unrolled: 1-line block ×3, first 2 shown]
	v_add_f16_e32 v42, v23, v7
	v_add_f16_e32 v38, v38, v54
	;; [unrolled: 1-line block ×5, first 2 shown]
	v_sub_f16_e32 v34, v11, v9
	v_sub_f16_e32 v36, v12, v10
	;; [unrolled: 1-line block ×6, first 2 shown]
	v_mul_f16_e32 v47, 0xb482, v13
	v_mul_f16_e32 v50, 0xb482, v29
	;; [unrolled: 1-line block ×10, first 2 shown]
	v_add_f16_e32 v44, v11, v9
	v_add_f16_e32 v11, v23, v11
	;; [unrolled: 1-line block ×8, first 2 shown]
	v_mul_f16_e32 v48, 0x3853, v18
	v_mul_f16_e32 v49, 0xba0c, v22
	;; [unrolled: 1-line block ×40, first 2 shown]
	v_fmamk_f16 v88, v14, 0xbbad, v47
	v_fma_f16 v90, v28, 0xbbad, -v50
	v_fmamk_f16 v91, v14, 0xb93d, v52
	v_fma_f16 v93, v28, 0xb93d, -v56
	;; [unrolled: 2-line block ×3, first 2 shown]
	v_fma_f16 v97, v28, 0x36a6, -v65
	v_fma_f16 v98, v28, 0x3abb, -v29
	v_fmac_f16_e32 v50, 0xbbad, v28
	v_fmac_f16_e32 v56, 0xb93d, v28
	;; [unrolled: 1-line block ×5, first 2 shown]
	v_fmamk_f16 v28, v14, 0x36a6, v62
	v_fmamk_f16 v100, v14, 0x3abb, v13
	v_fma_f16 v47, v14, 0xbbad, -v47
	v_fma_f16 v52, v14, 0xb93d, -v52
	;; [unrolled: 1-line block ×4, first 2 shown]
	v_add_f16_e32 v11, v11, v12
	v_add_f16_e32 v12, v23, v33
	v_fmamk_f16 v89, v19, 0x3abb, v48
	v_fmamk_f16 v92, v19, 0xb08e, v53
	;; [unrolled: 1-line block ×4, first 2 shown]
	v_fma_f16 v13, v14, 0x3abb, -v13
	v_fmamk_f16 v14, v19, 0x36a6, v18
	v_fma_f16 v48, v19, 0x3abb, -v48
	v_fma_f16 v53, v19, 0xb08e, -v53
	;; [unrolled: 1-line block ×5, first 2 shown]
	v_fmamk_f16 v19, v26, 0xb93d, v49
	v_fma_f16 v49, v26, 0xb93d, -v49
	v_fmamk_f16 v101, v26, 0x3abb, v55
	v_fma_f16 v55, v26, 0x3abb, -v55
	;; [unrolled: 2-line block ×15, first 2 shown]
	v_fma_f16 v37, v40, 0x3abb, -v30
	v_fmac_f16_e32 v30, 0x3abb, v40
	v_fma_f16 v113, v40, 0xb08e, -v51
	v_fmac_f16_e32 v51, 0xb08e, v40
	;; [unrolled: 2-line block ×20, first 2 shown]
	v_add_f16_e32 v46, v5, v90
	v_add_f16_e32 v90, v5, v93
	;; [unrolled: 1-line block ×110, first 2 shown]
	v_pack_b32_f16 v9, v34, v14
	v_pack_b32_f16 v14, v29, v28
	;; [unrolled: 1-line block ×11, first 2 shown]
	ds_write2_b32 v20, v14, v24 offset0:30 offset1:45
	ds_write2_b32 v20, v19, v17 offset0:60 offset1:75
	;; [unrolled: 1-line block ×4, first 2 shown]
	ds_write2_b32 v20, v6, v9 offset1:15
	ds_write_b32 v20, v5 offset:600
.LBB0_21:
	s_or_b32 exec_lo, exec_lo, s1
	v_lshlrev_b32_e32 v5, 1, v15
	v_mov_b32_e32 v6, 0
	v_add_nc_u32_e32 v13, 0x14a, v15
	v_mov_b32_e32 v9, 0x8d31
	s_waitcnt lgkmcnt(0)
	s_barrier
	v_lshlrev_b64 v[7:8], 2, v[5:6]
	buffer_gl0_inv
	v_mul_u32_u24_sdwa v5, v13, v9 dst_sel:DWORD dst_unused:UNUSED_PAD src0_sel:WORD_0 src1_sel:DWORD
	v_lshl_add_u32 v11, v15, 2, 0
	v_add_nc_u32_e32 v12, 0xc00, v0
	v_add_nc_u32_e32 v10, 0x1200, v0
	v_add_co_u32 v7, s0, s12, v7
	v_lshrrev_b32_e32 v5, 16, v5
	v_add_co_ci_u32_e64 v8, s0, s13, v8, s0
	v_add_nc_u32_e32 v11, 0x200, v11
	v_add_nc_u32_e32 v29, 0x400, v0
	v_sub_nc_u16 v9, v13, v5
	global_load_dwordx2 v[17:18], v[7:8], off offset:648
	v_add_nc_u32_e32 v30, 0xa00, v0
	v_lshrrev_b16 v9, 1, v9
	v_add_nc_u16 v5, v9, v5
	v_lshrrev_b16 v5, 7, v5
	v_mul_lo_u16 v5, 0xa5, v5
	v_sub_nc_u16 v5, v13, v5
	v_and_b32_e32 v5, 0xffff, v5
	v_lshlrev_b32_e32 v9, 3, v5
	v_lshl_add_u32 v5, v5, 2, 0
	global_load_dwordx2 v[19:20], v9, s[12:13] offset:648
	v_add_nc_u32_e32 v9, 0x700, v0
	ds_read_b32 v14, v0
	ds_read2_b32 v[21:22], v9 offset0:47 offset1:212
	ds_read2_b32 v[23:24], v10 offset0:3 offset1:168
	;; [unrolled: 1-line block ×4, first 2 shown]
	v_add_nc_u32_e32 v40, 0xf00, v5
	s_waitcnt vmcnt(0) lgkmcnt(0)
	s_barrier
	buffer_gl0_inv
	v_lshrrev_b32_e32 v31, 16, v14
	v_lshrrev_b32_e32 v33, 16, v21
	;; [unrolled: 1-line block ×9, first 2 shown]
	v_mul_f16_sdwa v41, v17, v33 dst_sel:DWORD dst_unused:UNUSED_PAD src0_sel:WORD_1 src1_sel:DWORD
	v_mul_f16_sdwa v42, v17, v21 dst_sel:DWORD dst_unused:UNUSED_PAD src0_sel:WORD_1 src1_sel:DWORD
	v_mul_f16_sdwa v43, v18, v34 dst_sel:DWORD dst_unused:UNUSED_PAD src0_sel:WORD_1 src1_sel:DWORD
	v_mul_f16_sdwa v46, v17, v22 dst_sel:DWORD dst_unused:UNUSED_PAD src0_sel:WORD_1 src1_sel:DWORD
	v_mul_f16_sdwa v48, v18, v23 dst_sel:DWORD dst_unused:UNUSED_PAD src0_sel:WORD_1 src1_sel:DWORD
	v_mul_f16_sdwa v44, v18, v26 dst_sel:DWORD dst_unused:UNUSED_PAD src0_sel:WORD_1 src1_sel:DWORD
	v_mul_f16_sdwa v45, v17, v35 dst_sel:DWORD dst_unused:UNUSED_PAD src0_sel:WORD_1 src1_sel:DWORD
	v_mul_f16_sdwa v47, v18, v36 dst_sel:DWORD dst_unused:UNUSED_PAD src0_sel:WORD_1 src1_sel:DWORD
	v_fma_f16 v21, v17, v21, -v41
	v_fmac_f16_e32 v42, v17, v33
	v_fma_f16 v26, v18, v26, -v43
	v_fmac_f16_e32 v46, v17, v35
	v_fmac_f16_e32 v48, v18, v36
	;; [unrolled: 1-line block ×3, first 2 shown]
	v_fma_f16 v22, v17, v22, -v45
	v_fma_f16 v17, v18, v23, -v47
	v_add_f16_e32 v18, v14, v21
	v_add_f16_e32 v23, v21, v26
	v_add_f16_e32 v34, v31, v42
	v_add_f16_e32 v45, v46, v48
	v_add_f16_e32 v35, v42, v44
	v_add_f16_e32 v36, v27, v22
	v_add_f16_e32 v41, v22, v17
	v_add_f16_e32 v43, v38, v46
	v_sub_f16_e32 v22, v22, v17
	v_add_f16_e32 v18, v18, v26
	v_fmac_f16_e32 v14, -0.5, v23
	v_add_f16_e32 v23, v34, v44
	v_fmac_f16_e32 v38, -0.5, v45
	v_sub_f16_e32 v21, v21, v26
	v_fmac_f16_e32 v31, -0.5, v35
	v_add_f16_e32 v17, v36, v17
	v_fma_f16 v26, -0.5, v41, v27
	v_fmamk_f16 v35, v22, 0xbaee, v38
	v_fmac_f16_e32 v38, 0x3aee, v22
	v_pack_b32_f16 v18, v18, v23
	v_sub_f16_e32 v33, v42, v44
	v_add_f16_e32 v27, v43, v48
	v_sub_f16_e32 v42, v46, v48
	v_mul_f16_sdwa v22, v19, v37 dst_sel:DWORD dst_unused:UNUSED_PAD src0_sel:WORD_1 src1_sel:DWORD
	v_mul_f16_sdwa v23, v32, v20 dst_sel:DWORD dst_unused:UNUSED_PAD src0_sel:DWORD src1_sel:WORD_1
	v_mul_f16_sdwa v36, v19, v25 dst_sel:DWORD dst_unused:UNUSED_PAD src0_sel:WORD_1 src1_sel:DWORD
	v_mul_f16_sdwa v41, v24, v20 dst_sel:DWORD dst_unused:UNUSED_PAD src0_sel:DWORD src1_sel:WORD_1
	v_fmamk_f16 v34, v33, 0x3aee, v14
	v_fma_f16 v22, v19, v25, -v22
	v_fma_f16 v23, v24, v20, -v23
	v_fmac_f16_e32 v36, v19, v37
	v_fmac_f16_e32 v41, v32, v20
	;; [unrolled: 1-line block ×3, first 2 shown]
	v_fmamk_f16 v33, v21, 0xbaee, v31
	v_fmac_f16_e32 v31, 0x3aee, v21
	v_add_f16_e32 v20, v22, v23
	v_add_f16_e32 v25, v36, v41
	v_pack_b32_f16 v17, v17, v27
	v_add_f16_e32 v24, v28, v22
	v_pack_b32_f16 v14, v14, v31
	v_sub_f16_e32 v27, v36, v41
	v_add_f16_e32 v31, v39, v36
	v_fmac_f16_e32 v28, -0.5, v20
	v_sub_f16_e32 v20, v22, v23
	v_fmac_f16_e32 v39, -0.5, v25
	v_fmamk_f16 v21, v42, 0x3aee, v26
	v_fmac_f16_e32 v26, 0xbaee, v42
	v_add_f16_e32 v22, v24, v23
	v_add_f16_e32 v23, v31, v41
	v_fmamk_f16 v24, v27, 0x3aee, v28
	v_fmamk_f16 v25, v20, 0xbaee, v39
	v_fmac_f16_e32 v28, 0xbaee, v27
	v_fmac_f16_e32 v39, 0x3aee, v20
	v_pack_b32_f16 v19, v34, v33
	v_pack_b32_f16 v20, v21, v35
	v_pack_b32_f16 v21, v26, v38
	v_pack_b32_f16 v22, v22, v23
	v_pack_b32_f16 v23, v24, v25
	v_pack_b32_f16 v24, v28, v39
	ds_write2_b32 v0, v18, v19 offset1:165
	ds_write2_b32 v29, v14, v17 offset0:74 offset1:239
	ds_write2_b32 v30, v20, v21 offset0:20 offset1:185
	;; [unrolled: 1-line block ×3, first 2 shown]
	ds_write_b32 v5, v24 offset:5280
	s_waitcnt lgkmcnt(0)
	s_barrier
	buffer_gl0_inv
	s_and_saveexec_b32 s0, vcc_lo
	s_cbranch_execz .LBB0_23
; %bb.22:
	v_lshlrev_b32_e32 v5, 1, v13
	v_add_nc_u32_e32 v26, 0xa5, v15
	v_mul_lo_u32 v24, s2, v4
	v_add_nc_u32_e32 v27, 0x14a, v15
	v_lshlrev_b64 v[13:14], 2, v[5:6]
	v_lshlrev_b32_e32 v5, 1, v16
	v_mul_hi_u32 v25, 0x21195767, v26
	v_mul_hi_u32 v28, 0x21195767, v27
	v_lshlrev_b64 v[16:17], 2, v[5:6]
	v_add_co_u32 v13, vcc_lo, s12, v13
	v_add_co_ci_u32_e32 v14, vcc_lo, s13, v14, vcc_lo
	v_mul_lo_u32 v5, s3, v3
	v_add_co_u32 v16, vcc_lo, s12, v16
	global_load_dwordx2 v[13:14], v[13:14], off offset:1968
	v_add_co_ci_u32_e32 v17, vcc_lo, s13, v17, vcc_lo
	v_mad_u64_u32 v[3:4], null, s2, v3, 0
	s_clause 0x1
	global_load_dwordx2 v[16:17], v[16:17], off offset:1968
	global_load_dwordx2 v[7:8], v[7:8], off offset:1968
	ds_read2_b32 v[18:19], v12 offset0:57 offset1:222
	v_mul_hi_u32 v12, 0x21195767, v15
	ds_read2_b32 v[20:21], v10 offset0:3 offset1:168
	ds_read2_b32 v[10:11], v11 offset0:37 offset1:202
	ds_read_b32 v34, v0
	ds_read2_b32 v[22:23], v9 offset0:47 offset1:212
	v_add3_u32 v4, v4, v24, v5
	v_lshrrev_b32_e32 v9, 6, v25
	v_lshlrev_b64 v[0:1], 2, v[1:2]
	v_mov_b32_e32 v2, v6
	v_mov_b32_e32 v25, v6
	v_lshrrev_b32_e32 v12, 6, v12
	v_lshlrev_b64 v[3:4], 2, v[3:4]
	v_mul_u32_u24_e32 v5, 0x1ef, v12
	v_lshrrev_b32_e32 v12, 6, v28
	v_add_co_u32 v3, vcc_lo, s10, v3
	v_add_co_ci_u32_e32 v4, vcc_lo, s11, v4, vcc_lo
	v_sub_nc_u32_e32 v5, v15, v5
	v_mul_u32_u24_e32 v15, 0x1ef, v9
	v_mul_u32_u24_e32 v24, 0x1ef, v12
	v_add_co_u32 v38, vcc_lo, v3, v0
	v_lshlrev_b32_e32 v28, 2, v5
	v_sub_nc_u32_e32 v5, v26, v15
	v_add_co_ci_u32_e32 v39, vcc_lo, v4, v1, vcc_lo
	v_sub_nc_u32_e32 v15, v27, v24
	v_add_co_u32 v3, vcc_lo, v38, v28
	v_mad_u32_u24 v5, 0x5cd, v9, v5
	v_add_co_ci_u32_e32 v4, vcc_lo, 0, v39, vcc_lo
	v_add_co_u32 v28, vcc_lo, 0x800, v3
	v_lshlrev_b64 v[26:27], 2, v[5:6]
	v_add_nc_u32_e32 v1, 0x1ef, v5
	v_add_nc_u32_e32 v5, 0x3de, v5
	v_add_co_ci_u32_e32 v29, vcc_lo, 0, v4, vcc_lo
	s_waitcnt lgkmcnt(2)
	v_lshrrev_b32_e32 v35, 16, v11
	v_lshlrev_b64 v[0:1], 2, v[1:2]
	v_lshlrev_b64 v[30:31], 2, v[5:6]
	v_mad_u32_u24 v5, 0x5cd, v12, v15
	v_add_co_u32 v26, vcc_lo, v38, v26
	v_add_co_ci_u32_e32 v27, vcc_lo, v39, v27, vcc_lo
	v_add_nc_u32_e32 v24, 0x1ef, v5
	v_lshlrev_b64 v[32:33], 2, v[5:6]
	v_add_co_u32 v0, vcc_lo, v38, v0
	v_add_nc_u32_e32 v5, 0x3de, v5
	v_add_co_ci_u32_e32 v1, vcc_lo, v39, v1, vcc_lo
	v_add_co_u32 v30, vcc_lo, v38, v30
	v_lshlrev_b64 v[24:25], 2, v[24:25]
	v_add_co_ci_u32_e32 v31, vcc_lo, v39, v31, vcc_lo
	v_lshlrev_b64 v[5:6], 2, v[5:6]
	v_add_co_u32 v32, vcc_lo, v38, v32
	v_add_co_ci_u32_e32 v33, vcc_lo, v39, v33, vcc_lo
	v_add_co_u32 v24, vcc_lo, v38, v24
	v_add_co_ci_u32_e32 v25, vcc_lo, v39, v25, vcc_lo
	;; [unrolled: 2-line block ×3, first 2 shown]
	v_lshrrev_b32_e32 v36, 16, v10
	s_waitcnt lgkmcnt(1)
	v_lshrrev_b32_e32 v37, 16, v34
	s_waitcnt vmcnt(2)
	v_lshrrev_b32_e32 v2, 16, v13
	v_lshrrev_b32_e32 v9, 16, v14
	v_mul_f16_sdwa v12, v13, v18 dst_sel:DWORD dst_unused:UNUSED_PAD src0_sel:DWORD src1_sel:WORD_1
	v_mul_f16_sdwa v15, v14, v21 dst_sel:DWORD dst_unused:UNUSED_PAD src0_sel:DWORD src1_sel:WORD_1
	;; [unrolled: 1-line block ×4, first 2 shown]
	v_fmac_f16_e32 v12, v2, v18
	v_fmac_f16_e32 v15, v21, v9
	s_waitcnt vmcnt(1)
	v_lshrrev_b32_e32 v2, 16, v16
	v_lshrrev_b32_e32 v9, 16, v17
	s_waitcnt lgkmcnt(0)
	v_mul_f16_sdwa v40, v16, v23 dst_sel:DWORD dst_unused:UNUSED_PAD src0_sel:DWORD src1_sel:WORD_1
	v_mul_f16_sdwa v41, v17, v20 dst_sel:DWORD dst_unused:UNUSED_PAD src0_sel:DWORD src1_sel:WORD_1
	s_waitcnt vmcnt(0)
	v_lshrrev_b32_e32 v42, 16, v7
	v_lshrrev_b32_e32 v43, 16, v8
	v_mul_f16_sdwa v44, v7, v22 dst_sel:DWORD dst_unused:UNUSED_PAD src0_sel:DWORD src1_sel:WORD_1
	v_mul_f16_sdwa v45, v8, v19 dst_sel:DWORD dst_unused:UNUSED_PAD src0_sel:DWORD src1_sel:WORD_1
	v_fma_f16 v13, v13, v18, -v38
	v_fma_f16 v14, v14, v21, -v39
	v_add_f16_e32 v21, v12, v35
	v_mul_f16_sdwa v38, v2, v23 dst_sel:DWORD dst_unused:UNUSED_PAD src0_sel:DWORD src1_sel:WORD_1
	v_mul_f16_sdwa v39, v9, v20 dst_sel:DWORD dst_unused:UNUSED_PAD src0_sel:DWORD src1_sel:WORD_1
	v_fmac_f16_e32 v40, v2, v23
	v_fmac_f16_e32 v41, v9, v20
	v_mul_f16_sdwa v2, v42, v22 dst_sel:DWORD dst_unused:UNUSED_PAD src0_sel:DWORD src1_sel:WORD_1
	v_mul_f16_sdwa v9, v43, v19 dst_sel:DWORD dst_unused:UNUSED_PAD src0_sel:DWORD src1_sel:WORD_1
	v_fmac_f16_e32 v44, v42, v22
	v_fmac_f16_e32 v45, v43, v19
	v_add_f16_e32 v18, v12, v15
	v_sub_f16_e32 v12, v12, v15
	v_sub_f16_e32 v42, v13, v14
	v_add_f16_e32 v15, v15, v21
	v_add_f16_e32 v21, v13, v14
	;; [unrolled: 1-line block ×3, first 2 shown]
	v_fma_f16 v16, v16, v23, -v38
	v_fma_f16 v17, v17, v20, -v39
	v_add_f16_e32 v20, v40, v41
	v_fma_f16 v2, v7, v22, -v2
	v_fma_f16 v7, v8, v19, -v9
	v_add_f16_e32 v8, v44, v45
	v_add_f16_e32 v19, v44, v37
	v_fma_f16 v11, -0.5, v21, v11
	v_add_f16_e32 v13, v14, v13
	v_sub_f16_e32 v14, v16, v17
	v_fma_f16 v20, -0.5, v20, v36
	v_add_f16_e32 v21, v16, v17
	v_add_f16_e32 v16, v16, v10
	v_fma_f16 v8, -0.5, v8, v37
	v_add_f16_e32 v37, v2, v7
	v_fma_f16 v18, -0.5, v18, v35
	v_add_f16_e32 v35, v40, v36
	v_sub_f16_e32 v36, v2, v7
	v_add_f16_e32 v2, v2, v34
	v_sub_f16_e32 v9, v44, v45
	v_fmamk_f16 v38, v12, 0xbaee, v11
	v_fmac_f16_e32 v11, 0x3aee, v12
	v_fmamk_f16 v12, v14, 0x3aee, v20
	v_fmac_f16_e32 v20, 0xbaee, v14
	v_add_f16_e32 v14, v16, v17
	v_fma_f16 v17, -0.5, v37, v34
	v_sub_f16_e32 v23, v40, v41
	v_add_f16_e32 v19, v19, v45
	v_fma_f16 v10, -0.5, v21, v10
	v_add_f16_e32 v2, v2, v7
	v_fmamk_f16 v16, v36, 0x3aee, v8
	v_fmac_f16_e32 v8, 0xbaee, v36
	v_pack_b32_f16 v7, v13, v15
	v_fmamk_f16 v15, v9, 0xbaee, v17
	v_fmac_f16_e32 v17, 0x3aee, v9
	v_add_f16_e32 v35, v35, v41
	v_fmamk_f16 v13, v23, 0xbaee, v10
	v_fmac_f16_e32 v10, 0x3aee, v23
	v_pack_b32_f16 v2, v2, v19
	v_fmamk_f16 v22, v42, 0x3aee, v18
	v_fmac_f16_e32 v18, 0xbaee, v42
	v_pack_b32_f16 v8, v17, v8
	v_pack_b32_f16 v15, v15, v16
	;; [unrolled: 1-line block ×3, first 2 shown]
	global_store_dword v[3:4], v2, off
	v_pack_b32_f16 v2, v10, v20
	v_pack_b32_f16 v10, v13, v12
	;; [unrolled: 1-line block ×4, first 2 shown]
	global_store_dword v[3:4], v8, off offset:1980
	global_store_dword v[28:29], v15, off offset:1912
	global_store_dword v[26:27], v9, off
	global_store_dword v[0:1], v2, off
	;; [unrolled: 1-line block ×6, first 2 shown]
.LBB0_23:
	s_endpgm
	.section	.rodata,"a",@progbits
	.p2align	6, 0x0
	.amdhsa_kernel fft_rtc_fwd_len1485_factors_3_5_11_3_3_wgs_165_tpt_165_half_op_CI_CI_unitstride_sbrr_dirReg
		.amdhsa_group_segment_fixed_size 0
		.amdhsa_private_segment_fixed_size 0
		.amdhsa_kernarg_size 104
		.amdhsa_user_sgpr_count 6
		.amdhsa_user_sgpr_private_segment_buffer 1
		.amdhsa_user_sgpr_dispatch_ptr 0
		.amdhsa_user_sgpr_queue_ptr 0
		.amdhsa_user_sgpr_kernarg_segment_ptr 1
		.amdhsa_user_sgpr_dispatch_id 0
		.amdhsa_user_sgpr_flat_scratch_init 0
		.amdhsa_user_sgpr_private_segment_size 0
		.amdhsa_wavefront_size32 1
		.amdhsa_uses_dynamic_stack 0
		.amdhsa_system_sgpr_private_segment_wavefront_offset 0
		.amdhsa_system_sgpr_workgroup_id_x 1
		.amdhsa_system_sgpr_workgroup_id_y 0
		.amdhsa_system_sgpr_workgroup_id_z 0
		.amdhsa_system_sgpr_workgroup_info 0
		.amdhsa_system_vgpr_workitem_id 0
		.amdhsa_next_free_vgpr 127
		.amdhsa_next_free_sgpr 27
		.amdhsa_reserve_vcc 1
		.amdhsa_reserve_flat_scratch 0
		.amdhsa_float_round_mode_32 0
		.amdhsa_float_round_mode_16_64 0
		.amdhsa_float_denorm_mode_32 3
		.amdhsa_float_denorm_mode_16_64 3
		.amdhsa_dx10_clamp 1
		.amdhsa_ieee_mode 1
		.amdhsa_fp16_overflow 0
		.amdhsa_workgroup_processor_mode 1
		.amdhsa_memory_ordered 1
		.amdhsa_forward_progress 0
		.amdhsa_shared_vgpr_count 0
		.amdhsa_exception_fp_ieee_invalid_op 0
		.amdhsa_exception_fp_denorm_src 0
		.amdhsa_exception_fp_ieee_div_zero 0
		.amdhsa_exception_fp_ieee_overflow 0
		.amdhsa_exception_fp_ieee_underflow 0
		.amdhsa_exception_fp_ieee_inexact 0
		.amdhsa_exception_int_div_zero 0
	.end_amdhsa_kernel
	.text
.Lfunc_end0:
	.size	fft_rtc_fwd_len1485_factors_3_5_11_3_3_wgs_165_tpt_165_half_op_CI_CI_unitstride_sbrr_dirReg, .Lfunc_end0-fft_rtc_fwd_len1485_factors_3_5_11_3_3_wgs_165_tpt_165_half_op_CI_CI_unitstride_sbrr_dirReg
                                        ; -- End function
	.section	.AMDGPU.csdata,"",@progbits
; Kernel info:
; codeLenInByte = 7960
; NumSgprs: 29
; NumVgprs: 127
; ScratchSize: 0
; MemoryBound: 0
; FloatMode: 240
; IeeeMode: 1
; LDSByteSize: 0 bytes/workgroup (compile time only)
; SGPRBlocks: 3
; VGPRBlocks: 15
; NumSGPRsForWavesPerEU: 29
; NumVGPRsForWavesPerEU: 127
; Occupancy: 8
; WaveLimiterHint : 1
; COMPUTE_PGM_RSRC2:SCRATCH_EN: 0
; COMPUTE_PGM_RSRC2:USER_SGPR: 6
; COMPUTE_PGM_RSRC2:TRAP_HANDLER: 0
; COMPUTE_PGM_RSRC2:TGID_X_EN: 1
; COMPUTE_PGM_RSRC2:TGID_Y_EN: 0
; COMPUTE_PGM_RSRC2:TGID_Z_EN: 0
; COMPUTE_PGM_RSRC2:TIDIG_COMP_CNT: 0
	.text
	.p2alignl 6, 3214868480
	.fill 48, 4, 3214868480
	.type	__hip_cuid_ad83145b5c29c8e5,@object ; @__hip_cuid_ad83145b5c29c8e5
	.section	.bss,"aw",@nobits
	.globl	__hip_cuid_ad83145b5c29c8e5
__hip_cuid_ad83145b5c29c8e5:
	.byte	0                               ; 0x0
	.size	__hip_cuid_ad83145b5c29c8e5, 1

	.ident	"AMD clang version 19.0.0git (https://github.com/RadeonOpenCompute/llvm-project roc-6.4.0 25133 c7fe45cf4b819c5991fe208aaa96edf142730f1d)"
	.section	".note.GNU-stack","",@progbits
	.addrsig
	.addrsig_sym __hip_cuid_ad83145b5c29c8e5
	.amdgpu_metadata
---
amdhsa.kernels:
  - .args:
      - .actual_access:  read_only
        .address_space:  global
        .offset:         0
        .size:           8
        .value_kind:     global_buffer
      - .offset:         8
        .size:           8
        .value_kind:     by_value
      - .actual_access:  read_only
        .address_space:  global
        .offset:         16
        .size:           8
        .value_kind:     global_buffer
      - .actual_access:  read_only
        .address_space:  global
        .offset:         24
        .size:           8
        .value_kind:     global_buffer
      - .actual_access:  read_only
        .address_space:  global
        .offset:         32
        .size:           8
        .value_kind:     global_buffer
      - .offset:         40
        .size:           8
        .value_kind:     by_value
      - .actual_access:  read_only
        .address_space:  global
        .offset:         48
        .size:           8
        .value_kind:     global_buffer
      - .actual_access:  read_only
        .address_space:  global
        .offset:         56
        .size:           8
        .value_kind:     global_buffer
      - .offset:         64
        .size:           4
        .value_kind:     by_value
      - .actual_access:  read_only
        .address_space:  global
        .offset:         72
        .size:           8
        .value_kind:     global_buffer
      - .actual_access:  read_only
        .address_space:  global
        .offset:         80
        .size:           8
        .value_kind:     global_buffer
      - .actual_access:  read_only
        .address_space:  global
        .offset:         88
        .size:           8
        .value_kind:     global_buffer
      - .actual_access:  write_only
        .address_space:  global
        .offset:         96
        .size:           8
        .value_kind:     global_buffer
    .group_segment_fixed_size: 0
    .kernarg_segment_align: 8
    .kernarg_segment_size: 104
    .language:       OpenCL C
    .language_version:
      - 2
      - 0
    .max_flat_workgroup_size: 165
    .name:           fft_rtc_fwd_len1485_factors_3_5_11_3_3_wgs_165_tpt_165_half_op_CI_CI_unitstride_sbrr_dirReg
    .private_segment_fixed_size: 0
    .sgpr_count:     29
    .sgpr_spill_count: 0
    .symbol:         fft_rtc_fwd_len1485_factors_3_5_11_3_3_wgs_165_tpt_165_half_op_CI_CI_unitstride_sbrr_dirReg.kd
    .uniform_work_group_size: 1
    .uses_dynamic_stack: false
    .vgpr_count:     127
    .vgpr_spill_count: 0
    .wavefront_size: 32
    .workgroup_processor_mode: 1
amdhsa.target:   amdgcn-amd-amdhsa--gfx1030
amdhsa.version:
  - 1
  - 2
...

	.end_amdgpu_metadata
